;; amdgpu-corpus repo=llvm/llvm-project kind=harvested arch=n/a opt=n/a
// NOTE: Assertions have been autogenerated by utils/update_mc_test_checks.py UTC_ARGS: --unique --sort --version 6
// RUN: not llvm-mc -triple=amdgcn -mcpu=tahiti %s -filetype=null 2>&1 | FileCheck %s --check-prefix=NOGCN --implicit-check-not=error:
// RUN: not llvm-mc -triple=amdgcn -mcpu=fiji %s -filetype=null 2>&1 | FileCheck %s --check-prefix=NOGCN --implicit-check-not=error:
// RUN: not llvm-mc -triple=amdgcn -mcpu=gfx900 %s -filetype=null 2>&1 | FileCheck %s --check-prefix=NOGFX9 --implicit-check-not=error:
// RUN: not llvm-mc -triple=amdgcn -mcpu=gfx90a %s -filetype=null 2>&1 | FileCheck %s --check-prefix=NOGFX90A --implicit-check-not=error:

//===----------------------------------------------------------------------===//
// Image Load/Store
//===----------------------------------------------------------------------===//

//===----------------------------------------------------------------------===//
// Image Sample
//===----------------------------------------------------------------------===//

//===----------------------------------------------------------------------===//
// Image Atomics
//===----------------------------------------------------------------------===//

//===----------------------------------------------------------------------===//
// Image Gather
//===----------------------------------------------------------------------===//

image_atomic_add v252, v2, s[8:15]
// NOGCN: :[[@LINE-1]]:1: error: invalid atomic image dmask
// NOGFX9: :[[@LINE-2]]:1: error: invalid atomic image dmask
// NOGFX90A: :[[@LINE-3]]:1: error: invalid atomic image dmask

image_atomic_add v252, v2, s[8:15] dmask:0x1 tfe
// NOGCN: :[[@LINE-1]]:1: error: image data size does not match dmask and tfe
// NOGFX9: :[[@LINE-2]]:1: error: image data size does not match dmask and tfe
// NOGFX90A: :[[@LINE-3]]:46: error: invalid operand for instruction

image_atomic_add v[6:7], v255, s[8:15] dmask:0x2
// NOGCN: :[[@LINE-1]]:1: error: image data size does not match dmask and tfe
// NOGFX9: :[[@LINE-2]]:1: error: image data size does not match dmask and tfe
// NOGFX90A: :[[@LINE-3]]:1: error: image data size does not match dmask

image_atomic_add v[6:7], v255, s[8:15] dmask:0x2 tfe
// NOGCN: :[[@LINE-1]]:40: error: invalid atomic image dmask
// NOGFX9: :[[@LINE-2]]:40: error: invalid atomic image dmask
// NOGFX90A: :[[@LINE-3]]:50: error: invalid operand for instruction

image_atomic_add v[6:7], v255, s[8:15] dmask:0xf
// NOGCN: :[[@LINE-1]]:1: error: image data size does not match dmask and tfe
// NOGFX9: :[[@LINE-2]]:1: error: image data size does not match dmask and tfe
// NOGFX90A: :[[@LINE-3]]:1: error: image data size does not match dmask

image_atomic_cmpswap v[4:7], v[192:195], s[28:35] dmask:0xe tfe
// NOGCN: :[[@LINE-1]]:51: error: invalid atomic image dmask
// NOGFX9: :[[@LINE-2]]:51: error: invalid atomic image dmask
// NOGFX90A: :[[@LINE-3]]:61: error: invalid operand for instruction

image_atomic_cmpswap v[4:7], v[192:195], s[28:35] dmask:0xf tfe
// NOGCN: :[[@LINE-1]]:1: error: image data size does not match dmask and tfe
// NOGFX9: :[[@LINE-2]]:1: error: image data size does not match dmask and tfe
// NOGFX90A: :[[@LINE-3]]:61: error: invalid operand for instruction

image_gather4_cl v[5:8], v[1:4], s[8:15], s[12:15] dmask:0x3
// NOGCN: :[[@LINE-1]]:52: error: invalid image_gather dmask: only one bit must be set
// NOGFX9: :[[@LINE-2]]:52: error: invalid image_gather dmask: only one bit must be set
// NOGFX90A: :[[@LINE-3]]:1: error: instruction not supported on this GPU (gfx90a): image_gather4_cl

image_load    v4, v[236:239], s[28:35] tfe
// NOGCN: :[[@LINE-1]]:1: error: image data size does not match dmask and tfe
// NOGFX9: :[[@LINE-2]]:1: error: image data size does not match dmask, d16 and tfe
// NOGFX90A: :[[@LINE-3]]:40: error: invalid operand for instruction

image_load    v[4:5], v[236:239], s[28:35] dmask:0x7
// NOGCN: :[[@LINE-1]]:1: error: image data size does not match dmask and tfe
// NOGFX9: :[[@LINE-2]]:1: error: image data size does not match dmask, d16 and tfe
// NOGFX90A: :[[@LINE-3]]:1: error: image data size does not match dmask and d16

image_load    v[4:6], v[237:240], s[28:35] dmask:0x7 tfe
// NOGCN: :[[@LINE-1]]:1: error: image data size does not match dmask and tfe
// NOGFX9: :[[@LINE-2]]:1: error: image data size does not match dmask, d16 and tfe
// NOGFX90A: :[[@LINE-3]]:23: error: invalid operand for instruction

image_sample  v[192:194], v[236:239], s[28:35], s[4:7] dmask:0x3
// NOGCN: :[[@LINE-1]]:1: error: image data size does not match dmask and tfe
// NOGFX9: :[[@LINE-2]]:1: error: image data size does not match dmask, d16 and tfe
// NOGFX90A: :[[@LINE-3]]:1: error: image data size does not match dmask and d16

image_sample  v[192:194], v[236:239], s[28:35], s[4:7] dmask:0x7 tfe
// NOGCN: :[[@LINE-1]]:1: error: image data size does not match dmask and tfe
// NOGFX9: :[[@LINE-2]]:1: error: image data size does not match dmask, d16 and tfe
// NOGFX90A: :[[@LINE-3]]:66: error: invalid operand for instruction

image_sample  v[192:194], v[236:239], s[28:35], s[4:7] dmask:0xf
// NOGCN: :[[@LINE-1]]:1: error: image data size does not match dmask and tfe
// NOGFX9: :[[@LINE-2]]:1: error: image data size does not match dmask, d16 and tfe
// NOGFX90A: :[[@LINE-3]]:1: error: image data size does not match dmask and d16

image_store   v[4:7], v[236:239], s[28:35] dmask:0x7
// NOGCN: :[[@LINE-1]]:1: error: image data size does not match dmask and tfe
// NOGFX9: :[[@LINE-2]]:1: error: image data size does not match dmask, d16 and tfe
// NOGFX90A: :[[@LINE-3]]:1: error: image data size does not match dmask and d16

image_store   v[4:7], v[236:239], s[28:35] dmask:0xe
// NOGCN: :[[@LINE-1]]:1: error: image data size does not match dmask and tfe
// NOGFX9: :[[@LINE-2]]:1: error: image data size does not match dmask, d16 and tfe
// NOGFX90A: :[[@LINE-3]]:1: error: image data size does not match dmask and d16
